;; amdgpu-corpus repo=ROCm/rocFFT kind=compiled arch=gfx1201 opt=O3
	.text
	.amdgcn_target "amdgcn-amd-amdhsa--gfx1201"
	.amdhsa_code_object_version 6
	.protected	fft_rtc_back_len819_factors_9_7_13_wgs_117_tpt_117_half_ip_CI_sbrr_dirReg ; -- Begin function fft_rtc_back_len819_factors_9_7_13_wgs_117_tpt_117_half_ip_CI_sbrr_dirReg
	.globl	fft_rtc_back_len819_factors_9_7_13_wgs_117_tpt_117_half_ip_CI_sbrr_dirReg
	.p2align	8
	.type	fft_rtc_back_len819_factors_9_7_13_wgs_117_tpt_117_half_ip_CI_sbrr_dirReg,@function
fft_rtc_back_len819_factors_9_7_13_wgs_117_tpt_117_half_ip_CI_sbrr_dirReg: ; @fft_rtc_back_len819_factors_9_7_13_wgs_117_tpt_117_half_ip_CI_sbrr_dirReg
; %bb.0:
	s_clause 0x2
	s_load_b64 s[12:13], s[0:1], 0x18
	s_load_b128 s[4:7], s[0:1], 0x0
	s_load_b64 s[10:11], s[0:1], 0x50
	v_mul_u32_u24_e32 v1, 0x231, v0
	v_mov_b32_e32 v3, 0
	s_delay_alu instid0(VALU_DEP_2) | instskip(NEXT) | instid1(VALU_DEP_1)
	v_lshrrev_b32_e32 v1, 16, v1
	v_add_nc_u32_e32 v5, ttmp9, v1
	v_mov_b32_e32 v1, 0
	v_mov_b32_e32 v2, 0
	;; [unrolled: 1-line block ×3, first 2 shown]
	s_wait_kmcnt 0x0
	s_load_b64 s[8:9], s[12:13], 0x0
	v_cmp_lt_u64_e64 s2, s[6:7], 2
	s_delay_alu instid0(VALU_DEP_1)
	s_and_b32 vcc_lo, exec_lo, s2
	s_cbranch_vccnz .LBB0_8
; %bb.1:
	s_load_b64 s[2:3], s[0:1], 0x10
	v_mov_b32_e32 v1, 0
	v_mov_b32_e32 v2, 0
	s_add_nc_u64 s[14:15], s[12:13], 8
	s_mov_b64 s[16:17], 1
	s_wait_kmcnt 0x0
	s_add_nc_u64 s[18:19], s[2:3], 8
	s_mov_b32 s3, 0
.LBB0_2:                                ; =>This Inner Loop Header: Depth=1
	s_load_b64 s[20:21], s[18:19], 0x0
                                        ; implicit-def: $vgpr7_vgpr8
	s_mov_b32 s2, exec_lo
	s_wait_kmcnt 0x0
	v_or_b32_e32 v4, s21, v6
	s_delay_alu instid0(VALU_DEP_1)
	v_cmpx_ne_u64_e32 0, v[3:4]
	s_wait_alu 0xfffe
	s_xor_b32 s22, exec_lo, s2
	s_cbranch_execz .LBB0_4
; %bb.3:                                ;   in Loop: Header=BB0_2 Depth=1
	s_cvt_f32_u32 s2, s20
	s_cvt_f32_u32 s23, s21
	s_sub_nc_u64 s[26:27], 0, s[20:21]
	s_wait_alu 0xfffe
	s_delay_alu instid0(SALU_CYCLE_1) | instskip(SKIP_1) | instid1(SALU_CYCLE_2)
	s_fmamk_f32 s2, s23, 0x4f800000, s2
	s_wait_alu 0xfffe
	v_s_rcp_f32 s2, s2
	s_delay_alu instid0(TRANS32_DEP_1) | instskip(SKIP_1) | instid1(SALU_CYCLE_2)
	s_mul_f32 s2, s2, 0x5f7ffffc
	s_wait_alu 0xfffe
	s_mul_f32 s23, s2, 0x2f800000
	s_wait_alu 0xfffe
	s_delay_alu instid0(SALU_CYCLE_2) | instskip(SKIP_1) | instid1(SALU_CYCLE_2)
	s_trunc_f32 s23, s23
	s_wait_alu 0xfffe
	s_fmamk_f32 s2, s23, 0xcf800000, s2
	s_cvt_u32_f32 s25, s23
	s_wait_alu 0xfffe
	s_delay_alu instid0(SALU_CYCLE_1) | instskip(SKIP_1) | instid1(SALU_CYCLE_2)
	s_cvt_u32_f32 s24, s2
	s_wait_alu 0xfffe
	s_mul_u64 s[28:29], s[26:27], s[24:25]
	s_wait_alu 0xfffe
	s_mul_hi_u32 s31, s24, s29
	s_mul_i32 s30, s24, s29
	s_mul_hi_u32 s2, s24, s28
	s_mul_i32 s33, s25, s28
	s_wait_alu 0xfffe
	s_add_nc_u64 s[30:31], s[2:3], s[30:31]
	s_mul_hi_u32 s23, s25, s28
	s_mul_hi_u32 s34, s25, s29
	s_add_co_u32 s2, s30, s33
	s_wait_alu 0xfffe
	s_add_co_ci_u32 s2, s31, s23
	s_mul_i32 s28, s25, s29
	s_add_co_ci_u32 s29, s34, 0
	s_wait_alu 0xfffe
	s_add_nc_u64 s[28:29], s[2:3], s[28:29]
	s_wait_alu 0xfffe
	v_add_co_u32 v4, s2, s24, s28
	s_delay_alu instid0(VALU_DEP_1) | instskip(SKIP_1) | instid1(VALU_DEP_1)
	s_cmp_lg_u32 s2, 0
	s_add_co_ci_u32 s25, s25, s29
	v_readfirstlane_b32 s24, v4
	s_wait_alu 0xfffe
	s_delay_alu instid0(VALU_DEP_1)
	s_mul_u64 s[26:27], s[26:27], s[24:25]
	s_wait_alu 0xfffe
	s_mul_hi_u32 s29, s24, s27
	s_mul_i32 s28, s24, s27
	s_mul_hi_u32 s2, s24, s26
	s_mul_i32 s30, s25, s26
	s_wait_alu 0xfffe
	s_add_nc_u64 s[28:29], s[2:3], s[28:29]
	s_mul_hi_u32 s23, s25, s26
	s_mul_hi_u32 s24, s25, s27
	s_wait_alu 0xfffe
	s_add_co_u32 s2, s28, s30
	s_add_co_ci_u32 s2, s29, s23
	s_mul_i32 s26, s25, s27
	s_add_co_ci_u32 s27, s24, 0
	s_wait_alu 0xfffe
	s_add_nc_u64 s[26:27], s[2:3], s[26:27]
	s_wait_alu 0xfffe
	v_add_co_u32 v4, s2, v4, s26
	s_delay_alu instid0(VALU_DEP_1) | instskip(SKIP_1) | instid1(VALU_DEP_1)
	s_cmp_lg_u32 s2, 0
	s_add_co_ci_u32 s2, s25, s27
	v_mul_hi_u32 v13, v5, v4
	s_wait_alu 0xfffe
	v_mad_co_u64_u32 v[7:8], null, v5, s2, 0
	v_mad_co_u64_u32 v[9:10], null, v6, v4, 0
	;; [unrolled: 1-line block ×3, first 2 shown]
	s_delay_alu instid0(VALU_DEP_3) | instskip(SKIP_1) | instid1(VALU_DEP_4)
	v_add_co_u32 v4, vcc_lo, v13, v7
	s_wait_alu 0xfffd
	v_add_co_ci_u32_e32 v7, vcc_lo, 0, v8, vcc_lo
	s_delay_alu instid0(VALU_DEP_2) | instskip(SKIP_1) | instid1(VALU_DEP_2)
	v_add_co_u32 v4, vcc_lo, v4, v9
	s_wait_alu 0xfffd
	v_add_co_ci_u32_e32 v4, vcc_lo, v7, v10, vcc_lo
	s_wait_alu 0xfffd
	v_add_co_ci_u32_e32 v7, vcc_lo, 0, v12, vcc_lo
	s_delay_alu instid0(VALU_DEP_2) | instskip(SKIP_1) | instid1(VALU_DEP_2)
	v_add_co_u32 v4, vcc_lo, v4, v11
	s_wait_alu 0xfffd
	v_add_co_ci_u32_e32 v9, vcc_lo, 0, v7, vcc_lo
	s_delay_alu instid0(VALU_DEP_2) | instskip(SKIP_1) | instid1(VALU_DEP_3)
	v_mul_lo_u32 v10, s21, v4
	v_mad_co_u64_u32 v[7:8], null, s20, v4, 0
	v_mul_lo_u32 v11, s20, v9
	s_delay_alu instid0(VALU_DEP_2) | instskip(NEXT) | instid1(VALU_DEP_2)
	v_sub_co_u32 v7, vcc_lo, v5, v7
	v_add3_u32 v8, v8, v11, v10
	s_delay_alu instid0(VALU_DEP_1) | instskip(SKIP_1) | instid1(VALU_DEP_1)
	v_sub_nc_u32_e32 v10, v6, v8
	s_wait_alu 0xfffd
	v_subrev_co_ci_u32_e64 v10, s2, s21, v10, vcc_lo
	v_add_co_u32 v11, s2, v4, 2
	s_wait_alu 0xf1ff
	v_add_co_ci_u32_e64 v12, s2, 0, v9, s2
	v_sub_co_u32 v13, s2, v7, s20
	v_sub_co_ci_u32_e32 v8, vcc_lo, v6, v8, vcc_lo
	s_wait_alu 0xf1ff
	v_subrev_co_ci_u32_e64 v10, s2, 0, v10, s2
	s_delay_alu instid0(VALU_DEP_3) | instskip(NEXT) | instid1(VALU_DEP_3)
	v_cmp_le_u32_e32 vcc_lo, s20, v13
	v_cmp_eq_u32_e64 s2, s21, v8
	s_wait_alu 0xfffd
	v_cndmask_b32_e64 v13, 0, -1, vcc_lo
	v_cmp_le_u32_e32 vcc_lo, s21, v10
	s_wait_alu 0xfffd
	v_cndmask_b32_e64 v14, 0, -1, vcc_lo
	v_cmp_le_u32_e32 vcc_lo, s20, v7
	;; [unrolled: 3-line block ×3, first 2 shown]
	s_wait_alu 0xfffd
	v_cndmask_b32_e64 v15, 0, -1, vcc_lo
	v_cmp_eq_u32_e32 vcc_lo, s21, v10
	s_wait_alu 0xf1ff
	s_delay_alu instid0(VALU_DEP_2)
	v_cndmask_b32_e64 v7, v15, v7, s2
	s_wait_alu 0xfffd
	v_cndmask_b32_e32 v10, v14, v13, vcc_lo
	v_add_co_u32 v13, vcc_lo, v4, 1
	s_wait_alu 0xfffd
	v_add_co_ci_u32_e32 v14, vcc_lo, 0, v9, vcc_lo
	s_delay_alu instid0(VALU_DEP_3) | instskip(SKIP_2) | instid1(VALU_DEP_3)
	v_cmp_ne_u32_e32 vcc_lo, 0, v10
	s_wait_alu 0xfffd
	v_cndmask_b32_e32 v10, v13, v11, vcc_lo
	v_cndmask_b32_e32 v8, v14, v12, vcc_lo
	v_cmp_ne_u32_e32 vcc_lo, 0, v7
	s_wait_alu 0xfffd
	s_delay_alu instid0(VALU_DEP_2)
	v_dual_cndmask_b32 v7, v4, v10 :: v_dual_cndmask_b32 v8, v9, v8
.LBB0_4:                                ;   in Loop: Header=BB0_2 Depth=1
	s_wait_alu 0xfffe
	s_and_not1_saveexec_b32 s2, s22
	s_cbranch_execz .LBB0_6
; %bb.5:                                ;   in Loop: Header=BB0_2 Depth=1
	v_cvt_f32_u32_e32 v4, s20
	s_sub_co_i32 s22, 0, s20
	s_delay_alu instid0(VALU_DEP_1) | instskip(NEXT) | instid1(TRANS32_DEP_1)
	v_rcp_iflag_f32_e32 v4, v4
	v_mul_f32_e32 v4, 0x4f7ffffe, v4
	s_delay_alu instid0(VALU_DEP_1) | instskip(SKIP_1) | instid1(VALU_DEP_1)
	v_cvt_u32_f32_e32 v4, v4
	s_wait_alu 0xfffe
	v_mul_lo_u32 v7, s22, v4
	s_delay_alu instid0(VALU_DEP_1) | instskip(NEXT) | instid1(VALU_DEP_1)
	v_mul_hi_u32 v7, v4, v7
	v_add_nc_u32_e32 v4, v4, v7
	s_delay_alu instid0(VALU_DEP_1) | instskip(NEXT) | instid1(VALU_DEP_1)
	v_mul_hi_u32 v4, v5, v4
	v_mul_lo_u32 v7, v4, s20
	v_add_nc_u32_e32 v8, 1, v4
	s_delay_alu instid0(VALU_DEP_2) | instskip(NEXT) | instid1(VALU_DEP_1)
	v_sub_nc_u32_e32 v7, v5, v7
	v_subrev_nc_u32_e32 v9, s20, v7
	v_cmp_le_u32_e32 vcc_lo, s20, v7
	s_wait_alu 0xfffd
	s_delay_alu instid0(VALU_DEP_2) | instskip(NEXT) | instid1(VALU_DEP_1)
	v_dual_cndmask_b32 v7, v7, v9 :: v_dual_cndmask_b32 v4, v4, v8
	v_cmp_le_u32_e32 vcc_lo, s20, v7
	s_delay_alu instid0(VALU_DEP_2) | instskip(SKIP_1) | instid1(VALU_DEP_1)
	v_add_nc_u32_e32 v8, 1, v4
	s_wait_alu 0xfffd
	v_dual_cndmask_b32 v7, v4, v8 :: v_dual_mov_b32 v8, v3
.LBB0_6:                                ;   in Loop: Header=BB0_2 Depth=1
	s_wait_alu 0xfffe
	s_or_b32 exec_lo, exec_lo, s2
	s_load_b64 s[22:23], s[14:15], 0x0
	s_delay_alu instid0(VALU_DEP_1)
	v_mul_lo_u32 v4, v8, s20
	v_mul_lo_u32 v11, v7, s21
	v_mad_co_u64_u32 v[9:10], null, v7, s20, 0
	s_add_nc_u64 s[16:17], s[16:17], 1
	s_add_nc_u64 s[14:15], s[14:15], 8
	s_wait_alu 0xfffe
	v_cmp_ge_u64_e64 s2, s[16:17], s[6:7]
	s_add_nc_u64 s[18:19], s[18:19], 8
	s_delay_alu instid0(VALU_DEP_2) | instskip(NEXT) | instid1(VALU_DEP_3)
	v_add3_u32 v4, v10, v11, v4
	v_sub_co_u32 v5, vcc_lo, v5, v9
	s_wait_alu 0xfffd
	s_delay_alu instid0(VALU_DEP_2) | instskip(SKIP_3) | instid1(VALU_DEP_2)
	v_sub_co_ci_u32_e32 v4, vcc_lo, v6, v4, vcc_lo
	s_and_b32 vcc_lo, exec_lo, s2
	s_wait_kmcnt 0x0
	v_mul_lo_u32 v6, s23, v5
	v_mul_lo_u32 v4, s22, v4
	v_mad_co_u64_u32 v[1:2], null, s22, v5, v[1:2]
	s_delay_alu instid0(VALU_DEP_1)
	v_add3_u32 v2, v6, v2, v4
	s_wait_alu 0xfffe
	s_cbranch_vccnz .LBB0_9
; %bb.7:                                ;   in Loop: Header=BB0_2 Depth=1
	v_dual_mov_b32 v5, v7 :: v_dual_mov_b32 v6, v8
	s_branch .LBB0_2
.LBB0_8:
	v_dual_mov_b32 v8, v6 :: v_dual_mov_b32 v7, v5
.LBB0_9:
	s_lshl_b64 s[2:3], s[6:7], 3
	v_mul_hi_u32 v3, 0x2302303, v0
	s_wait_alu 0xfffe
	s_add_nc_u64 s[2:3], s[12:13], s[2:3]
                                        ; implicit-def: $vgpr6
                                        ; implicit-def: $vgpr15
                                        ; implicit-def: $vgpr12
	s_load_b64 s[2:3], s[2:3], 0x0
	s_load_b64 s[6:7], s[0:1], 0x20
	v_mov_b32_e32 v11, 0
	s_delay_alu instid0(VALU_DEP_2) | instskip(NEXT) | instid1(VALU_DEP_1)
	v_mul_u32_u24_e32 v3, 0x75, v3
	v_sub_nc_u32_e32 v14, v0, v3
                                        ; implicit-def: $vgpr3
	s_delay_alu instid0(VALU_DEP_1)
	v_cmp_gt_u32_e64 s0, 0x5b, v14
	s_wait_kmcnt 0x0
	v_mul_lo_u32 v4, s2, v8
	v_mul_lo_u32 v5, s3, v7
	v_mad_co_u64_u32 v[1:2], null, s2, v7, v[1:2]
	v_cmp_gt_u64_e32 vcc_lo, s[6:7], v[7:8]
                                        ; implicit-def: $vgpr8
	s_delay_alu instid0(VALU_DEP_2) | instskip(SKIP_2) | instid1(VALU_DEP_2)
	v_add3_u32 v2, v5, v2, v4
	v_dual_mov_b32 v4, 0 :: v_dual_mov_b32 v5, 0
	s_and_b32 s1, vcc_lo, s0
	v_lshlrev_b64_e32 v[0:1], 2, v[1:2]
	v_mov_b32_e32 v2, 0
	s_wait_alu 0xfffe
	s_and_saveexec_b32 s2, s1
	s_cbranch_execz .LBB0_11
; %bb.10:
	v_add_nc_u32_e32 v10, 0x5b, v14
	v_mad_co_u64_u32 v[2:3], null, s8, v14, 0
	v_add_nc_u32_e32 v12, 0xb6, v14
	v_add_nc_u32_e32 v13, 0x111, v14
	s_delay_alu instid0(VALU_DEP_4) | instskip(SKIP_1) | instid1(VALU_DEP_4)
	v_mad_co_u64_u32 v[4:5], null, s8, v10, 0
	v_add_nc_u32_e32 v17, 0x16c, v14
	v_mad_co_u64_u32 v[6:7], null, s8, v12, 0
	v_add_nc_u32_e32 v19, 0x1c7, v14
	v_add_nc_u32_e32 v21, 0x222, v14
	v_add_co_u32 v25, s1, s10, v0
	v_mad_co_u64_u32 v[8:9], null, s9, v14, v[3:4]
	s_delay_alu instid0(VALU_DEP_4) | instskip(SKIP_3) | instid1(VALU_DEP_4)
	v_mad_co_u64_u32 v[15:16], null, s8, v19, 0
	s_wait_alu 0xf1ff
	v_add_co_ci_u32_e64 v26, s1, s11, v1, s1
	v_add_nc_u32_e32 v27, 0x2d8, v14
	v_dual_mov_b32 v3, v8 :: v_dual_add_nc_u32 v24, 0x27d, v14
	v_mad_co_u64_u32 v[9:10], null, s9, v10, v[5:6]
	v_mad_co_u64_u32 v[10:11], null, s8, v13, 0
	s_delay_alu instid0(VALU_DEP_3) | instskip(NEXT) | instid1(VALU_DEP_3)
	v_lshlrev_b64_e32 v[2:3], 2, v[2:3]
	v_mov_b32_e32 v5, v9
	v_mad_co_u64_u32 v[7:8], null, s9, v12, v[7:8]
	s_delay_alu instid0(VALU_DEP_4) | instskip(NEXT) | instid1(VALU_DEP_4)
	v_mov_b32_e32 v8, v11
	v_add_co_u32 v2, s1, v25, v2
	s_delay_alu instid0(VALU_DEP_4)
	v_lshlrev_b64_e32 v[4:5], 2, v[4:5]
	s_wait_alu 0xf1ff
	v_add_co_ci_u32_e64 v3, s1, v26, v3, s1
	v_mad_co_u64_u32 v[8:9], null, s9, v13, v[8:9]
	v_mad_co_u64_u32 v[12:13], null, s8, v17, 0
	v_lshlrev_b64_e32 v[6:7], 2, v[6:7]
	v_add_co_u32 v4, s1, v25, v4
	s_wait_alu 0xf1ff
	v_add_co_ci_u32_e64 v5, s1, v26, v5, s1
	s_delay_alu instid0(VALU_DEP_4) | instskip(NEXT) | instid1(VALU_DEP_4)
	v_dual_mov_b32 v11, v8 :: v_dual_mov_b32 v8, v13
	v_add_co_u32 v6, s1, v25, v6
	s_wait_alu 0xf1ff
	v_add_co_ci_u32_e64 v7, s1, v26, v7, s1
	s_delay_alu instid0(VALU_DEP_3) | instskip(SKIP_3) | instid1(VALU_DEP_4)
	v_mad_co_u64_u32 v[8:9], null, s9, v17, v[8:9]
	v_mad_co_u64_u32 v[17:18], null, s8, v21, 0
	v_lshlrev_b64_e32 v[10:11], 2, v[10:11]
	v_mov_b32_e32 v9, v16
	v_mov_b32_e32 v13, v8
	s_delay_alu instid0(VALU_DEP_2) | instskip(SKIP_2) | instid1(VALU_DEP_4)
	v_mad_co_u64_u32 v[8:9], null, s9, v19, v[9:10]
	v_mov_b32_e32 v9, v18
	v_mad_co_u64_u32 v[19:20], null, s8, v24, 0
	v_lshlrev_b64_e32 v[12:13], 2, v[12:13]
	s_delay_alu instid0(VALU_DEP_3) | instskip(SKIP_4) | instid1(VALU_DEP_4)
	v_mad_co_u64_u32 v[21:22], null, s9, v21, v[9:10]
	v_mad_co_u64_u32 v[22:23], null, s8, v27, 0
	v_add_co_u32 v9, s1, v25, v10
	s_wait_alu 0xf1ff
	v_add_co_ci_u32_e64 v10, s1, v26, v11, s1
	v_dual_mov_b32 v18, v21 :: v_dual_mov_b32 v11, v20
	v_mov_b32_e32 v16, v8
	v_mov_b32_e32 v8, v23
	s_delay_alu instid0(VALU_DEP_3) | instskip(NEXT) | instid1(VALU_DEP_4)
	v_lshlrev_b64_e32 v[17:18], 2, v[17:18]
	v_mad_co_u64_u32 v[20:21], null, s9, v24, v[11:12]
	s_delay_alu instid0(VALU_DEP_4) | instskip(NEXT) | instid1(VALU_DEP_4)
	v_lshlrev_b64_e32 v[15:16], 2, v[15:16]
	v_mad_co_u64_u32 v[23:24], null, s9, v27, v[8:9]
	v_add_co_u32 v12, s1, v25, v12
	s_wait_alu 0xf1ff
	v_add_co_ci_u32_e64 v13, s1, v26, v13, s1
	s_delay_alu instid0(VALU_DEP_4)
	v_add_co_u32 v15, s1, v25, v15
	v_lshlrev_b64_e32 v[19:20], 2, v[19:20]
	s_wait_alu 0xf1ff
	v_add_co_ci_u32_e64 v16, s1, v26, v16, s1
	v_add_co_u32 v17, s1, v25, v17
	v_lshlrev_b64_e32 v[21:22], 2, v[22:23]
	s_wait_alu 0xf1ff
	v_add_co_ci_u32_e64 v18, s1, v26, v18, s1
	v_add_co_u32 v19, s1, v25, v19
	s_wait_alu 0xf1ff
	v_add_co_ci_u32_e64 v20, s1, v26, v20, s1
	v_add_co_u32 v21, s1, v25, v21
	s_wait_alu 0xf1ff
	v_add_co_ci_u32_e64 v22, s1, v26, v22, s1
	s_clause 0x8
	global_load_b32 v3, v[2:3], off
	global_load_b32 v5, v[4:5], off
	global_load_b32 v11, v[6:7], off
	global_load_b32 v2, v[9:10], off
	global_load_b32 v4, v[12:13], off
	global_load_b32 v6, v[15:16], off
	global_load_b32 v15, v[17:18], off
	global_load_b32 v12, v[19:20], off
	global_load_b32 v8, v[21:22], off
.LBB0_11:
	s_wait_alu 0xfffe
	s_or_b32 exec_lo, exec_lo, s2
	s_wait_loadcnt 0x0
	v_pk_add_f16 v7, v5, v8
	v_pk_add_f16 v10, v11, v12
	v_pk_add_f16 v9, v5, v8 neg_lo:[0,1] neg_hi:[0,1]
	v_pk_add_f16 v11, v11, v12 neg_lo:[0,1] neg_hi:[0,1]
	;; [unrolled: 1-line block ×3, first 2 shown]
	v_pk_add_f16 v12, v4, v6
	v_pk_add_f16 v8, v2, v15
	v_pk_mul_f16 v5, 0x3924, v9 op_sel_hi:[0,1]
	v_pk_fma_f16 v16, 0x3a21, v7, v3 op_sel_hi:[0,1,1]
	v_pk_add_f16 v20, v2, v15 neg_lo:[0,1] neg_hi:[0,1]
	v_pk_mul_f16 v2, 0x3924, v13 op_sel_hi:[0,1]
	v_pk_fma_f16 v15, 0x3a21, v12, v3 op_sel_hi:[0,1,1]
	v_pk_fma_f16 v5, 0x3be1, v11, v5 op_sel_hi:[0,1,1]
	;; [unrolled: 1-line block ×3, first 2 shown]
	s_delay_alu instid0(VALU_DEP_4) | instskip(NEXT) | instid1(VALU_DEP_4)
	v_pk_fma_f16 v2, 0x3be1, v9, v2 op_sel_hi:[0,1,1] neg_lo:[0,0,1] neg_hi:[0,0,1]
	v_pk_fma_f16 v15, 0x318f, v7, v15 op_sel_hi:[0,1,1]
	s_delay_alu instid0(VALU_DEP_4) | instskip(NEXT) | instid1(VALU_DEP_4)
	v_pk_fma_f16 v5, 0x3aee, v20, v5 op_sel_hi:[0,1,1]
	v_pk_fma_f16 v16, v8, 0.5, v16 op_sel_hi:[1,0,1] neg_lo:[1,0,0] neg_hi:[1,0,0]
	s_delay_alu instid0(VALU_DEP_4) | instskip(NEXT) | instid1(VALU_DEP_4)
	v_pk_fma_f16 v2, 0x3aee, v20, v2 op_sel_hi:[0,1,1] neg_lo:[0,1,0] neg_hi:[0,1,0]
	v_pk_fma_f16 v15, v8, 0.5, v15 op_sel_hi:[1,0,1] neg_lo:[1,0,0] neg_hi:[1,0,0]
	s_delay_alu instid0(VALU_DEP_4) | instskip(NEXT) | instid1(VALU_DEP_4)
	v_pk_fma_f16 v21, 0x3579, v13, v5 op_sel_hi:[0,1,1]
	v_pk_fma_f16 v5, 0x3b84, v12, v16 op_sel_hi:[0,1,1] neg_lo:[0,1,0] neg_hi:[0,1,0]
	s_delay_alu instid0(VALU_DEP_4) | instskip(NEXT) | instid1(VALU_DEP_4)
	v_pk_fma_f16 v22, 0x3579, v11, v2 op_sel_hi:[0,1,1]
	v_pk_fma_f16 v2, 0x3b84, v10, v15 op_sel_hi:[0,1,1] neg_lo:[0,1,0] neg_hi:[0,1,0]
	s_delay_alu instid0(VALU_DEP_3) | instskip(SKIP_1) | instid1(VALU_DEP_3)
	v_pk_add_f16 v15, v5, v21 op_sel:[1,0] op_sel_hi:[0,1] neg_lo:[0,1] neg_hi:[0,1]
	v_pk_add_f16 v17, v5, v21 op_sel:[1,0] op_sel_hi:[0,1]
	v_pk_add_f16 v18, v2, v22 op_sel:[0,1] op_sel_hi:[1,0]
	v_pk_add_f16 v19, v2, v22 op_sel:[0,1] op_sel_hi:[1,0] neg_lo:[0,1] neg_hi:[0,1]
	v_lshrrev_b32_e32 v2, 16, v22
	s_delay_alu instid0(VALU_DEP_4) | instskip(NEXT) | instid1(VALU_DEP_4)
	v_bfi_b32 v16, 0xffff, v17, v15
	v_lshrrev_b32_e32 v24, 16, v18
	s_delay_alu instid0(VALU_DEP_3) | instskip(NEXT) | instid1(VALU_DEP_3)
	v_fma_f16 v5, 2.0, v2, v19
	v_pk_fma_f16 v2, v21, 2.0, v16 op_sel_hi:[1,0,1]
	v_pk_fma_f16 v16, v21, 2.0, v16 op_sel_hi:[1,0,1] neg_lo:[1,0,0] neg_hi:[1,0,0]
	s_delay_alu instid0(VALU_DEP_4)
	v_fmac_f16_e32 v24, -2.0, v22
	s_and_saveexec_b32 s1, s0
	s_cbranch_execz .LBB0_13
; %bb.12:
	v_pk_mul_f16 v21, 0xbbe1, v13 op_sel_hi:[0,1]
	v_pk_fma_f16 v22, 0x3a21, v10, v3 op_sel_hi:[0,1,1]
	v_pk_mul_f16 v20, 0x3aee, v20 op_sel_hi:[0,1]
	v_pk_add_f16 v13, v13, v9
	v_pk_mul_f16 v23, v8, 0.5 op_sel_hi:[1,0]
	v_pk_add_f16 v10, v10, v7
	v_pk_fma_f16 v21, 0xb924, v11, v21 op_sel_hi:[0,1,1]
	v_pk_fma_f16 v22, 0x318f, v12, v22 op_sel_hi:[0,1,1]
	v_pk_add_f16 v11, v13, v11 neg_lo:[0,1] neg_hi:[0,1]
	v_pk_add_f16 v13, v3, v8
	v_pk_add_f16 v12, v12, v10
	;; [unrolled: 1-line block ×3, first 2 shown]
	v_pk_add_f16 v21, v22, v23 neg_lo:[0,1] neg_hi:[0,1]
	v_pk_mul_f16 v11, 0x3aee, v11 op_sel_hi:[0,1]
	v_pk_add_f16 v8, v8, v10
	v_pk_fma_f16 v12, v12, -0.5, v13 op_sel_hi:[1,0,1]
	v_pk_fma_f16 v9, 0x3579, v9, v20 op_sel_hi:[0,1,1]
	v_pk_fma_f16 v7, 0xbb84, v7, v21 op_sel_hi:[0,1,1]
	v_alignbit_b32 v15, v17, v15, 16
	v_pk_add_f16 v4, v4, v8
	v_pk_add_f16 v10, v12, v11 op_sel:[0,1] op_sel_hi:[1,0] neg_lo:[0,1] neg_hi:[0,1]
	v_pk_add_f16 v12, v12, v11 op_sel:[0,1] op_sel_hi:[1,0]
	v_pk_add_f16 v13, v7, v9 op_sel:[0,1] op_sel_hi:[1,0] neg_lo:[0,1] neg_hi:[0,1]
	v_pk_add_f16 v7, v7, v9 op_sel:[0,1] op_sel_hi:[1,0]
	v_pk_add_f16 v4, v6, v4
	s_delay_alu instid0(VALU_DEP_4) | instskip(SKIP_1) | instid1(VALU_DEP_4)
	v_bfi_b32 v8, 0xffff, v10, v12
	v_bfi_b32 v10, 0xffff, v19, v18
	;; [unrolled: 1-line block ×3, first 2 shown]
	v_mad_u32_u24 v13, v14, 36, 0
	v_pk_add_f16 v3, v3, v4
	v_pk_fma_f16 v6, v11, 2.0, v8 op_sel:[1,0,0] op_sel_hi:[0,0,1]
	v_pk_fma_f16 v11, v11, 2.0, v8 op_sel:[1,0,0] op_sel_hi:[0,0,1] neg_lo:[1,0,0] neg_hi:[1,0,0]
	v_pk_fma_f16 v12, v9, 2.0, v7 op_sel:[1,0,0] op_sel_hi:[0,0,1]
	v_pk_fma_f16 v9, v9, 2.0, v7 op_sel:[1,0,0] op_sel_hi:[0,0,1] neg_lo:[1,0,0] neg_hi:[1,0,0]
	s_delay_alu instid0(VALU_DEP_3) | instskip(SKIP_1) | instid1(VALU_DEP_3)
	v_bfi_b32 v4, 0xffff, v6, v11
	v_alignbit_b32 v11, v16, v2, 16
	v_bfi_b32 v6, 0xffff, v12, v9
	v_perm_b32 v9, v24, v5, 0x5040100
	ds_store_2addr_b32 v13, v3, v15 offset1:1
	ds_store_2addr_b32 v13, v10, v8 offset0:2 offset1:3
	ds_store_b32 v13, v7 offset:16
	ds_store_2addr_b32 v13, v6, v4 offset0:5 offset1:6
	ds_store_2addr_b32 v13, v9, v11 offset0:7 offset1:8
.LBB0_13:
	s_wait_alu 0xfffe
	s_or_b32 exec_lo, exec_lo, s1
	v_and_b32_e32 v3, 0xff, v14
	global_wb scope:SCOPE_SE
	s_wait_dscnt 0x0
	s_barrier_signal -1
	s_barrier_wait -1
	global_inv scope:SCOPE_SE
	v_mul_lo_u16 v3, v3, 57
	v_lshl_add_u32 v12, v14, 2, 0
	v_cmp_gt_u32_e64 s0, 63, v14
	s_delay_alu instid0(VALU_DEP_3) | instskip(NEXT) | instid1(VALU_DEP_3)
	v_lshrrev_b16 v6, 9, v3
	v_add_nc_u32_e32 v17, 0x200, v12
	v_add_nc_u32_e32 v7, 0x600, v12
	s_delay_alu instid0(VALU_DEP_3) | instskip(SKIP_2) | instid1(VALU_DEP_3)
	v_mul_lo_u16 v3, v6, 9
	v_and_b32_e32 v15, 0xffff, v6
	v_lshrrev_b32_e32 v6, 16, v2
	v_sub_nc_u16 v3, v14, v3
	s_delay_alu instid0(VALU_DEP_3) | instskip(NEXT) | instid1(VALU_DEP_2)
	v_mul_u32_u24_e32 v15, 0xfc, v15
	v_and_b32_e32 v13, 0xff, v3
	s_delay_alu instid0(VALU_DEP_1) | instskip(SKIP_1) | instid1(VALU_DEP_2)
	v_mul_u32_u24_e32 v3, 6, v13
	v_lshlrev_b32_e32 v13, 2, v13
	v_lshlrev_b32_e32 v3, 2, v3
	s_delay_alu instid0(VALU_DEP_2)
	v_add3_u32 v13, 0, v15, v13
	s_clause 0x1
	global_load_b128 v[8:11], v3, s[4:5]
	global_load_b64 v[3:4], v3, s[4:5] offset:16
	ds_load_2addr_b32 v[18:19], v12 offset1:117
	ds_load_2addr_b32 v[20:21], v17 offset0:106 offset1:223
	ds_load_2addr_b32 v[22:23], v7 offset0:84 offset1:201
	ds_load_u16 v2, v12 offset:2810
	ds_load_b32 v25, v12 offset:2808
	global_wb scope:SCOPE_SE
	s_wait_loadcnt_dscnt 0x0
	s_barrier_signal -1
	s_barrier_wait -1
	global_inv scope:SCOPE_SE
	v_lshrrev_b32_e32 v28, 16, v20
	v_lshrrev_b32_e32 v26, 16, v19
	;; [unrolled: 1-line block ×12, first 2 shown]
	v_mul_f16_e32 v37, v15, v26
	v_mul_f16_e32 v15, v15, v19
	;; [unrolled: 1-line block ×12, first 2 shown]
	v_fmac_f16_e32 v37, v8, v19
	v_fma_f16 v8, v8, v26, -v15
	v_fmac_f16_e32 v38, v9, v20
	v_fma_f16 v9, v9, v28, -v32
	;; [unrolled: 2-line block ×6, first 2 shown]
	v_add_f16_e32 v11, v37, v42
	v_add_f16_e32 v15, v8, v2
	v_sub_f16_e32 v2, v8, v2
	v_add_f16_e32 v8, v38, v41
	v_add_f16_e32 v20, v9, v3
	v_sub_f16_e32 v21, v38, v41
	v_sub_f16_e32 v3, v9, v3
	v_add_f16_e32 v9, v39, v40
	v_add_f16_e32 v22, v10, v4
	v_sub_f16_e32 v23, v40, v39
	;; [unrolled: 4-line block ×3, first 2 shown]
	v_sub_f16_e32 v26, v8, v11
	v_sub_f16_e32 v28, v20, v15
	;; [unrolled: 1-line block ×6, first 2 shown]
	v_add_f16_e32 v29, v23, v21
	v_add_f16_e32 v30, v4, v3
	v_sub_f16_e32 v31, v23, v21
	v_sub_f16_e32 v32, v4, v3
	v_add_f16_e32 v9, v9, v10
	v_add_f16_e32 v10, v22, v25
	v_sub_f16_e32 v21, v21, v19
	v_sub_f16_e32 v3, v3, v2
	v_sub_f16_e32 v23, v19, v23
	v_sub_f16_e32 v4, v2, v4
	v_add_f16_e32 v19, v29, v19
	v_add_f16_e32 v22, v30, v2
	v_mul_f16_e32 v11, 0x3a52, v11
	v_mul_f16_e32 v25, 0x3a52, v15
	;; [unrolled: 1-line block ×6, first 2 shown]
	v_add_f16_e32 v2, v9, v18
	v_add_f16_e32 v15, v10, v27
	v_mul_f16_e32 v33, 0xbb00, v21
	v_mul_f16_e32 v34, 0xbb00, v3
	v_fmamk_f16 v8, v8, 0x2b26, v11
	v_fmamk_f16 v18, v20, 0x2b26, v25
	v_fma_f16 v20, v26, 0x39e0, -v29
	v_fma_f16 v27, v28, 0x39e0, -v30
	;; [unrolled: 1-line block ×4, first 2 shown]
	v_fmamk_f16 v26, v23, 0xb574, v31
	v_fmamk_f16 v28, v4, 0xb574, v32
	v_fma_f16 v29, v3, 0xbb00, -v32
	v_fmamk_f16 v3, v9, 0xbcab, v2
	v_fmamk_f16 v9, v10, 0xbcab, v15
	v_fma_f16 v21, v21, 0xbb00, -v31
	v_fma_f16 v30, v23, 0x3574, -v33
	;; [unrolled: 1-line block ×3, first 2 shown]
	v_fmac_f16_e32 v26, 0xb70e, v19
	v_fmac_f16_e32 v28, 0xb70e, v22
	v_add_f16_e32 v31, v8, v3
	v_add_f16_e32 v18, v18, v9
	v_fmac_f16_e32 v21, 0xb70e, v19
	v_fmac_f16_e32 v29, 0xb70e, v22
	;; [unrolled: 1-line block ×4, first 2 shown]
	v_add_f16_e32 v8, v20, v3
	v_add_f16_e32 v20, v11, v3
	;; [unrolled: 1-line block ×5, first 2 shown]
	v_sub_f16_e32 v22, v18, v26
	v_add_f16_e32 v10, v4, v20
	v_sub_f16_e32 v23, v32, v30
	v_sub_f16_e32 v11, v8, v29
	v_add_f16_e32 v25, v21, v9
	v_add_f16_e32 v8, v29, v8
	v_sub_f16_e32 v27, v9, v21
	v_sub_f16_e32 v9, v20, v4
	v_add_f16_e32 v29, v30, v32
	v_sub_f16_e32 v4, v31, v28
	v_add_f16_e32 v30, v26, v18
	v_pack_b32_f16 v19, v2, v15
	v_pack_b32_f16 v18, v3, v22
	;; [unrolled: 1-line block ×7, first 2 shown]
	ds_store_2addr_b32 v13, v19, v18 offset1:9
	ds_store_2addr_b32 v13, v20, v21 offset0:18 offset1:27
	ds_store_2addr_b32 v13, v26, v28 offset0:36 offset1:45
	ds_store_b32 v13, v31 offset:216
	global_wb scope:SCOPE_SE
	s_wait_dscnt 0x0
	s_barrier_signal -1
	s_barrier_wait -1
	global_inv scope:SCOPE_SE
                                        ; implicit-def: $vgpr33
                                        ; implicit-def: $vgpr20
                                        ; implicit-def: $vgpr35
                                        ; implicit-def: $vgpr13
                                        ; implicit-def: $vgpr34
                                        ; implicit-def: $vgpr31
	s_and_saveexec_b32 s1, s0
	s_cbranch_execnz .LBB0_16
; %bb.14:
	s_wait_alu 0xfffe
	s_or_b32 exec_lo, exec_lo, s1
	s_and_b32 s0, vcc_lo, s0
	s_wait_alu 0xfffe
	s_and_saveexec_b32 s1, s0
	s_cbranch_execnz .LBB0_17
.LBB0_15:
	s_endpgm
.LBB0_16:
	v_add_nc_u32_e32 v4, 0x800, v12
	v_add_nc_u32_e32 v5, 0x400, v12
	ds_load_2addr_b32 v[2:3], v12 offset1:63
	ds_load_2addr_b32 v[6:7], v7 offset0:120 offset1:183
	ds_load_b32 v20, v12 offset:3024
	ds_load_2addr_b32 v[10:11], v12 offset0:126 offset1:189
	ds_load_2addr_b32 v[8:9], v17 offset0:124 offset1:187
	;; [unrolled: 1-line block ×4, first 2 shown]
	s_wait_dscnt 0x6
	v_lshrrev_b32_e32 v15, 16, v2
	s_wait_dscnt 0x5
	v_lshrrev_b32_e32 v16, 16, v6
	v_lshrrev_b32_e32 v31, 16, v7
	s_wait_dscnt 0x4
	v_lshrrev_b32_e32 v33, 16, v20
	;; [unrolled: 3-line block ×6, first 2 shown]
	v_lshrrev_b32_e32 v24, 16, v5
	s_wait_alu 0xfffe
	s_or_b32 exec_lo, exec_lo, s1
	s_and_b32 s0, vcc_lo, s0
	s_wait_alu 0xfffe
	s_and_saveexec_b32 s1, s0
	s_cbranch_execz .LBB0_15
.LBB0_17:
	v_mul_u32_u24_e32 v17, 12, v14
	s_delay_alu instid0(VALU_DEP_1)
	v_lshlrev_b32_e32 v17, 2, v17
	s_clause 0x2
	global_load_b128 v[36:39], v17, s[4:5] offset:216
	global_load_b128 v[40:43], v17, s[4:5] offset:248
	;; [unrolled: 1-line block ×3, first 2 shown]
	s_wait_loadcnt 0x2
	v_lshrrev_b32_e32 v18, 16, v36
	s_wait_loadcnt 0x1
	v_lshrrev_b32_e32 v49, 16, v43
	v_lshrrev_b32_e32 v19, 16, v37
	;; [unrolled: 1-line block ×6, first 2 shown]
	s_wait_loadcnt 0x0
	v_lshrrev_b32_e32 v50, 16, v44
	v_lshrrev_b32_e32 v53, 16, v47
	v_mul_f16_e32 v54, v22, v18
	v_mul_f16_e32 v17, v33, v49
	;; [unrolled: 1-line block ×4, first 2 shown]
	v_lshrrev_b32_e32 v28, 16, v40
	v_lshrrev_b32_e32 v51, 16, v45
	v_mul_f16_e32 v56, v23, v19
	v_mul_f16_e32 v18, v35, v48
	;; [unrolled: 1-line block ×14, first 2 shown]
	v_fmac_f16_e32 v54, v3, v36
	v_fmac_f16_e32 v17, v20, v43
	v_fma_f16 v20, v33, v43, -v49
	v_fma_f16 v36, v22, v36, -v55
	v_mul_f16_e32 v21, v31, v28
	v_mul_f16_e32 v62, v7, v28
	;; [unrolled: 1-line block ×4, first 2 shown]
	v_fmac_f16_e32 v56, v10, v37
	v_fmac_f16_e32 v18, v13, v42
	v_fma_f16 v22, v35, v42, -v48
	v_fma_f16 v35, v23, v37, -v57
	v_fmac_f16_e32 v58, v11, v38
	v_fmac_f16_e32 v19, v12, v41
	v_fma_f16 v23, v34, v41, -v59
	v_fma_f16 v37, v25, v38, -v60
	v_fmac_f16_e32 v61, v8, v39
	v_fma_f16 v38, v27, v39, -v63
	v_fmac_f16_e32 v64, v9, v44
	v_fma_f16 v27, v16, v47, -v53
	v_fma_f16 v39, v29, v44, -v50
	v_sub_f16_e32 v16, v54, v17
	v_add_f16_e32 v41, v36, v20
	v_sub_f16_e32 v44, v36, v20
	v_add_f16_e32 v36, v15, v36
	v_lshrrev_b32_e32 v52, 16, v46
	v_fmac_f16_e32 v21, v7, v40
	v_fma_f16 v25, v31, v40, -v62
	v_fmac_f16_e32 v32, v4, v45
	v_fma_f16 v40, v30, v45, -v51
	v_sub_f16_e32 v13, v56, v18
	v_add_f16_e32 v42, v35, v22
	v_add_f16_e32 v12, v54, v17
	v_sub_f16_e32 v45, v35, v22
	v_mul_f16_e32 v49, 0xb94e, v16
	v_mul_f16_e32 v55, 0xb94e, v44
	v_add_f16_e32 v35, v36, v35
	v_mul_f16_e32 v28, v24, v52
	v_mul_f16_e32 v52, v5, v52
	v_add_f16_e32 v11, v56, v18
	v_add_f16_e32 v48, v2, v54
	v_mul_f16_e32 v50, 0x3bf1, v13
	v_mul_f16_e32 v57, 0x3bf1, v45
	;; [unrolled: 1-line block ×4, first 2 shown]
	v_fmamk_f16 v36, v41, 0xb9fd, v49
	v_fma_f16 v88, v12, 0xb9fd, -v55
	v_add_f16_e32 v35, v35, v37
	v_fmac_f16_e32 v26, v6, v47
	v_fmac_f16_e32 v28, v5, v46
	v_fma_f16 v31, v24, v46, -v52
	v_add_f16_e32 v34, v38, v25
	v_sub_f16_e32 v46, v37, v23
	v_sub_f16_e32 v47, v38, v25
	v_mul_f16_e32 v66, 0x3770, v13
	v_mul_f16_e32 v74, 0xb5ac, v41
	v_mul_f16_e32 v77, 0x394e, v45
	v_mul_f16_e32 v78, 0x2fb7, v41
	v_add_f16_e32 v48, v48, v56
	v_fmamk_f16 v56, v42, 0x2fb7, v50
	v_fma_f16 v89, v11, 0x2fb7, -v57
	v_fmamk_f16 v90, v41, 0xbbc4, v65
	v_add_f16_e32 v36, v15, v36
	v_add_f16_e32 v35, v35, v38
	v_fmamk_f16 v38, v12, 0xb5ac, v76
	v_add_f16_e32 v88, v2, v88
	v_fma_f16 v76, v12, 0xb5ac, -v76
	v_sub_f16_e32 v8, v58, v19
	v_add_f16_e32 v43, v37, v23
	v_add_f16_e32 v10, v58, v19
	v_mul_f16_e32 v59, 0xba95, v46
	v_mul_f16_e32 v71, 0xb3a8, v44
	;; [unrolled: 1-line block ×6, first 2 shown]
	v_fma_f16 v65, v41, 0xbbc4, -v65
	v_fma_f16 v41, v41, 0xb9fd, -v49
	v_fmamk_f16 v49, v42, 0x3b15, v66
	v_add_f16_e32 v48, v48, v58
	v_fmac_f16_e32 v55, 0xb9fd, v12
	v_fmamk_f16 v37, v16, 0x3b7b, v74
	v_add_f16_e32 v90, v15, v90
	v_add_f16_e32 v36, v36, v56
	v_fmamk_f16 v56, v11, 0xb9fd, v77
	v_add_f16_e32 v88, v88, v89
	v_fmamk_f16 v89, v16, 0x3bf1, v78
	v_fmac_f16_e32 v74, 0xbb7b, v16
	v_fmac_f16_e32 v78, 0xbbf1, v16
	v_fma_f16 v77, v11, 0xb9fd, -v77
	v_add_f16_e32 v76, v2, v76
	v_sub_f16_e32 v7, v61, v21
	v_add_f16_e32 v9, v61, v21
	v_mul_f16_e32 v51, 0xba95, v8
	v_mul_f16_e32 v67, 0xb94e, v8
	v_mul_f16_e32 v72, 0x3770, v45
	v_mul_f16_e32 v83, 0xb5ac, v42
	v_mul_f16_e32 v84, 0xba95, v44
	v_mul_f16_e32 v87, 0x388b, v42
	v_fma_f16 v66, v42, 0x3b15, -v66
	v_fma_f16 v42, v42, 0x2fb7, -v50
	;; [unrolled: 1-line block ×3, first 2 shown]
	v_fmac_f16_e32 v71, 0xbbc4, v12
	v_fmac_f16_e32 v57, 0x2fb7, v11
	v_add_f16_e32 v48, v48, v61
	v_fmamk_f16 v61, v13, 0xb94e, v75
	v_add_f16_e32 v49, v90, v49
	v_fmamk_f16 v90, v13, 0x33a8, v79
	v_add_f16_e32 v65, v15, v65
	v_add_f16_e32 v55, v2, v55
	v_fmac_f16_e32 v75, 0x394e, v13
	v_add_f16_e32 v74, v15, v74
	v_fmac_f16_e32 v79, 0xb3a8, v13
	v_add_f16_e32 v78, v15, v78
	v_add_f16_e32 v76, v76, v77
	v_fma_f16 v77, v10, 0x388b, -v59
	v_mul_f16_e32 v73, 0xb94e, v46
	v_mul_f16_e32 v80, 0xbbf1, v44
	;; [unrolled: 1-line block ×3, first 2 shown]
	v_fma_f16 v58, v11, 0x3b15, -v72
	v_fmac_f16_e32 v72, 0x3b15, v11
	v_add_f16_e32 v50, v2, v50
	v_add_f16_e32 v71, v2, v71
	;; [unrolled: 1-line block ×5, first 2 shown]
	v_fmamk_f16 v57, v12, 0x388b, v84
	v_add_f16_e32 v89, v15, v89
	v_add_f16_e32 v74, v74, v75
	v_fmamk_f16 v75, v43, 0x388b, v51
	v_add_f16_e32 v78, v78, v79
	v_fmamk_f16 v79, v43, 0xb9fd, v67
	v_add_f16_e32 v77, v88, v77
	v_mul_f16_e32 v88, 0xb5ac, v43
	v_fma_f16 v67, v43, 0xb9fd, -v67
	v_fmac_f16_e32 v59, 0x388b, v10
	v_sub_f16_e32 v6, v64, v26
	v_add_f16_e32 v5, v64, v26
	v_mul_f16_e32 v52, 0x33a8, v7
	v_mul_f16_e32 v81, 0xb3a8, v45
	v_add_f16_e32 v50, v50, v58
	v_fmamk_f16 v58, v12, 0x2fb7, v80
	v_add_f16_e32 v41, v15, v41
	v_add_f16_e32 v71, v71, v72
	;; [unrolled: 1-line block ×4, first 2 shown]
	v_fmamk_f16 v61, v11, 0xb5ac, v85
	v_add_f16_e32 v89, v89, v90
	v_add_f16_e32 v57, v2, v57
	v_add_f16_e32 v48, v48, v64
	v_mul_f16_e32 v64, 0x3b15, v43
	v_add_f16_e32 v35, v35, v39
	v_add_f16_e32 v36, v36, v75
	v_fma_f16 v75, v10, 0xb9fd, -v73
	v_add_f16_e32 v65, v65, v67
	v_mul_f16_e32 v67, 0xb3a8, v46
	v_fmac_f16_e32 v73, 0xb9fd, v10
	v_add_f16_e32 v55, v55, v59
	v_fmamk_f16 v59, v8, 0xbb7b, v88
	v_add_f16_e32 v30, v39, v27
	v_add_f16_e32 v24, v40, v31
	v_sub_f16_e32 v33, v39, v27
	v_sub_f16_e32 v29, v40, v31
	v_mul_f16_e32 v60, 0x33a8, v47
	v_mul_f16_e32 v44, 0xb770, v44
	v_fmamk_f16 v66, v11, 0xbbc4, v81
	v_fmamk_f16 v72, v16, 0x3a95, v82
	v_add_f16_e32 v41, v41, v42
	v_add_f16_e32 v58, v2, v58
	;; [unrolled: 1-line block ×3, first 2 shown]
	v_fmamk_f16 v56, v16, 0x3770, v86
	v_add_f16_e32 v57, v57, v61
	v_mul_f16_e32 v61, 0x3a95, v47
	v_mul_f16_e32 v39, 0x3770, v46
	v_add_f16_e32 v49, v49, v79
	v_mul_f16_e32 v79, 0x3b7b, v46
	v_fma_f16 v51, v43, 0x388b, -v51
	v_add_f16_e32 v71, v71, v73
	v_fmamk_f16 v73, v8, 0xb770, v64
	v_add_f16_e32 v59, v89, v59
	v_fmamk_f16 v89, v10, 0xbbc4, v67
	v_fmac_f16_e32 v64, 0x3770, v8
	v_add_f16_e32 v35, v35, v40
	v_fmamk_f16 v40, v34, 0xbbc4, v52
	v_sub_f16_e32 v3, v32, v28
	v_add_f16_e32 v4, v32, v28
	v_mul_f16_e32 v53, 0x3770, v6
	v_mul_f16_e32 v68, 0x3a95, v7
	;; [unrolled: 1-line block ×3, first 2 shown]
	v_fmamk_f16 v42, v13, 0x3b7b, v83
	v_fmamk_f16 v90, v13, 0x3a95, v87
	v_add_f16_e32 v72, v15, v72
	v_add_f16_e32 v58, v58, v66
	v_fmamk_f16 v66, v12, 0x3b15, v44
	v_add_f16_e32 v56, v15, v56
	v_add_f16_e32 v50, v50, v75
	v_mul_f16_e32 v75, 0xbbc4, v43
	v_mul_f16_e32 v43, 0x2fb7, v43
	v_add_f16_e32 v41, v41, v51
	v_fmamk_f16 v51, v10, 0x3b15, v39
	v_add_f16_e32 v37, v37, v73
	v_fmamk_f16 v73, v10, 0xb5ac, v79
	v_add_f16_e32 v57, v57, v89
	v_mul_f16_e32 v89, 0x2fb7, v34
	v_add_f16_e32 v32, v48, v32
	v_mul_f16_e32 v48, 0xbbf1, v47
	v_fma_f16 v39, v10, 0x3b15, -v39
	v_add_f16_e32 v64, v74, v64
	v_fma_f16 v74, v9, 0xbbc4, -v60
	v_add_f16_e32 v36, v36, v40
	v_fma_f16 v40, v9, 0x388b, -v61
	v_fmac_f16_e32 v61, 0x388b, v9
	v_fma_f16 v52, v34, 0xbbc4, -v52
	v_mul_f16_e32 v69, 0xbb7b, v6
	v_add_f16_e32 v42, v72, v42
	v_fmamk_f16 v72, v11, 0x388b, v45
	v_add_f16_e32 v66, v2, v66
	v_add_f16_e32 v56, v56, v90
	v_mul_f16_e32 v90, 0xbb7b, v33
	v_mul_f16_e32 v46, 0xbbf1, v46
	v_add_f16_e32 v38, v38, v51
	v_fmamk_f16 v51, v8, 0x33a8, v75
	v_add_f16_e32 v58, v58, v73
	v_fmamk_f16 v73, v8, 0x3bf1, v43
	;; [unrolled: 2-line block ×3, first 2 shown]
	v_add_f16_e32 v74, v77, v74
	v_mul_f16_e32 v77, 0x3b15, v34
	v_fma_f16 v68, v34, 0x388b, -v68
	v_add_f16_e32 v40, v50, v40
	v_mul_f16_e32 v50, 0xb9fd, v34
	v_fmac_f16_e32 v60, 0xbbc4, v9
	v_add_f16_e32 v61, v71, v61
	v_fmamk_f16 v71, v7, 0x3bf1, v89
	v_add_f16_e32 v41, v41, v52
	v_fmamk_f16 v52, v9, 0x2fb7, v48
	v_fmac_f16_e32 v89, 0xbbf1, v7
	v_add_f16_e32 v28, v32, v28
	v_fmamk_f16 v32, v30, 0x3b15, v53
	v_add_f16_e32 v66, v66, v72
	v_add_f16_e32 v42, v42, v51
	v_fmamk_f16 v51, v10, 0x2fb7, v46
	v_add_f16_e32 v56, v56, v73
	v_mul_f16_e32 v73, 0xbbc4, v30
	v_add_f16_e32 v49, v49, v76
	v_mul_f16_e32 v76, 0x3770, v47
	;; [unrolled: 2-line block ×3, first 2 shown]
	v_mul_f16_e32 v47, 0xbb7b, v47
	v_add_f16_e32 v55, v55, v60
	v_fmamk_f16 v60, v7, 0xb770, v77
	v_add_f16_e32 v38, v38, v52
	v_fmamk_f16 v52, v7, 0xb94e, v50
	;; [unrolled: 2-line block ×3, first 2 shown]
	v_add_f16_e32 v32, v36, v32
	v_fma_f16 v36, v5, 0xb5ac, -v90
	v_fmac_f16_e32 v90, 0xb5ac, v5
	v_add_f16_e32 v51, v66, v51
	v_mul_f16_e32 v34, 0xb5ac, v34
	v_add_f16_e32 v37, v37, v71
	v_fmamk_f16 v71, v9, 0x3b15, v76
	v_add_f16_e32 v59, v59, v60
	v_fmamk_f16 v60, v9, 0xb9fd, v68
	;; [unrolled: 2-line block ×3, first 2 shown]
	v_add_f16_e32 v31, v35, v31
	v_add_f16_e32 v49, v49, v89
	v_mul_f16_e32 v89, 0xba95, v33
	v_add_f16_e32 v61, v61, v90
	v_fmamk_f16 v90, v6, 0xb3a8, v73
	v_mul_f16_e32 v54, 0xbb7b, v3
	v_add_f16_e32 v58, v58, v71
	v_fmamk_f16 v71, v7, 0x3b7b, v34
	v_add_f16_e32 v57, v57, v60
	v_mul_f16_e32 v60, 0x33a8, v33
	v_add_f16_e32 v51, v51, v52
	v_mul_f16_e32 v52, 0x388b, v30
	v_fma_f16 v69, v30, 0xb5ac, -v69
	v_add_f16_e32 v36, v40, v36
	v_mul_f16_e32 v40, 0x2fb7, v30
	v_fma_f16 v53, v30, 0x3b15, -v53
	v_mul_f16_e32 v30, 0xb9fd, v30
	v_add_f16_e32 v37, v37, v90
	v_fmamk_f16 v90, v5, 0x388b, v89
	v_add_f16_e32 v26, v26, v28
	v_add_f16_e32 v27, v27, v31
	v_mul_f16_e32 v72, 0x3bf1, v29
	v_add_f16_e32 v56, v56, v71
	v_add_f16_e32 v41, v41, v53
	v_fmamk_f16 v53, v5, 0xbbc4, v60
	v_add_f16_e32 v58, v58, v90
	v_fmamk_f16 v90, v6, 0x394e, v30
	v_fmamk_f16 v28, v24, 0xb5ac, v54
	v_add_f16_e32 v21, v21, v26
	v_add_f16_e32 v25, v25, v27
	v_mul_f16_e32 v62, 0x3770, v33
	v_add_f16_e32 v38, v38, v53
	v_fmamk_f16 v53, v6, 0xbbf1, v40
	v_add_f16_e32 v56, v56, v90
	v_mul_f16_e32 v90, 0x3b15, v24
	v_add_f16_e32 v28, v32, v28
	v_fma_f16 v32, v4, 0x2fb7, -v72
	v_fmac_f16_e32 v72, 0x2fb7, v4
	v_add_f16_e32 v19, v19, v21
	v_add_f16_e32 v21, v23, v25
	v_fma_f16 v35, v5, 0x3b15, -v62
	v_fmac_f16_e32 v62, 0x3b15, v5
	v_add_f16_e32 v42, v42, v53
	v_add_f16_e32 v61, v61, v72
	v_fmamk_f16 v72, v3, 0xb770, v90
	v_fma_f16 v48, v9, 0x2fb7, -v48
	v_fma_f16 v80, v12, 0x2fb7, -v80
	v_add_f16_e32 v18, v18, v19
	v_add_f16_e32 v19, v22, v21
	v_mul_f16_e32 v63, 0xbb7b, v29
	v_mul_f16_e32 v70, 0x3bf1, v3
	;; [unrolled: 1-line block ×3, first 2 shown]
	v_add_f16_e32 v65, v65, v69
	v_mul_f16_e32 v69, 0x3bf1, v33
	v_mul_f16_e32 v33, 0xb94e, v33
	v_add_f16_e32 v55, v55, v62
	v_fmamk_f16 v62, v6, 0x3a95, v52
	v_fmac_f16_e32 v73, 0x33a8, v6
	v_add_f16_e32 v25, v42, v72
	v_add_f16_e32 v17, v17, v18
	;; [unrolled: 1-line block ×4, first 2 shown]
	v_fma_f16 v20, v5, 0xbbc4, -v60
	v_add_f16_e32 v39, v2, v80
	v_fma_f16 v42, v11, 0xbbc4, -v81
	v_mul_f16_e32 v66, 0x388b, v24
	v_add_f16_e32 v35, v74, v35
	v_add_f16_e32 v59, v59, v62
	v_fmamk_f16 v62, v5, 0x2fb7, v69
	v_fmamk_f16 v53, v5, 0xb9fd, v33
	;; [unrolled: 1-line block ×3, first 2 shown]
	v_add_f16_e32 v64, v64, v73
	v_fma_f16 v73, v4, 0xb5ac, -v63
	v_add_f16_e32 v19, v19, v20
	v_fma_f16 v20, v4, 0x388b, -v71
	;; [unrolled: 2-line block ×3, first 2 shown]
	v_add_f16_e32 v57, v57, v62
	v_mul_f16_e32 v62, 0xb94e, v29
	v_add_f16_e32 v51, v51, v53
	v_mul_f16_e32 v53, 0x3770, v29
	v_mul_f16_e32 v29, 0xb3a8, v29
	v_add_f16_e32 v35, v35, v73
	v_fmamk_f16 v73, v3, 0xba95, v66
	v_add_f16_e32 v31, v49, v31
	v_fmamk_f16 v49, v4, 0x388b, v71
	v_add_f16_e32 v19, v19, v20
	v_add_f16_e32 v20, v39, v42
	v_fma_f16 v39, v9, 0x3b15, -v76
	v_fmamk_f16 v26, v4, 0xbbc4, v29
	v_add_f16_e32 v27, v37, v73
	v_add_f16_e32 v37, v38, v49
	v_fmac_f16_e32 v88, 0x3b7b, v8
	v_add_f16_e32 v20, v20, v39
	v_fma_f16 v39, v5, 0x388b, -v89
	v_fma_f16 v49, v12, 0x388b, -v84
	v_add_f16_e32 v22, v51, v26
	v_add_f16_e32 v48, v78, v88
	v_fmac_f16_e32 v77, 0x3770, v7
	v_add_f16_e32 v20, v20, v39
	v_fma_f16 v39, v4, 0xb9fd, -v62
	v_add_f16_e32 v49, v2, v49
	v_fma_f16 v51, v11, 0xb5ac, -v85
	v_add_f16_e32 v48, v48, v77
	v_fmac_f16_e32 v52, 0xba95, v6
	v_fmac_f16_e32 v82, 0xba95, v16
	v_add_f16_e32 v20, v20, v39
	v_fmac_f16_e32 v86, 0xb770, v16
	v_add_f16_e32 v16, v49, v51
	v_fma_f16 v39, v10, 0xbbc4, -v67
	v_add_f16_e32 v42, v48, v52
	v_add_f16_e32 v48, v15, v82
	v_fmac_f16_e32 v83, 0xbb7b, v13
	v_add_f16_e32 v15, v15, v86
	v_fmac_f16_e32 v87, 0xba95, v13
	v_add_f16_e32 v13, v16, v39
	v_fma_f16 v16, v9, 0xb9fd, -v68
	v_fma_f16 v12, v12, 0x3b15, -v44
	v_fmac_f16_e32 v75, 0xb3a8, v8
	v_add_f16_e32 v15, v15, v87
	v_fmac_f16_e32 v43, 0xbbf1, v8
	v_add_f16_e32 v8, v13, v16
	v_fma_f16 v13, v5, 0x2fb7, -v69
	v_add_f16_e32 v2, v2, v12
	v_fma_f16 v11, v11, 0x388b, -v45
	v_add_f16_e32 v12, v15, v43
	v_fmac_f16_e32 v34, 0xbb7b, v7
	v_add_f16_e32 v13, v8, v13
	v_fma_f16 v8, v10, 0x2fb7, -v46
	v_add_f16_e32 v2, v2, v11
	v_fmac_f16_e32 v50, 0x394e, v7
	v_fmac_f16_e32 v40, 0x3bf1, v6
	v_fmac_f16_e32 v30, 0xb94e, v6
	v_mad_co_u64_u32 v[6:7], null, s8, v14, 0
	v_add_f16_e32 v10, v12, v34
	v_add_f16_e32 v2, v2, v8
	v_fma_f16 v8, v9, 0xb5ac, -v47
	v_add_nc_u32_e32 v12, 63, v14
	v_mul_f16_e32 v74, 0xb9fd, v24
	v_fma_f16 v70, v24, 0x2fb7, -v70
	v_fma_f16 v54, v24, 0xb5ac, -v54
	v_mul_f16_e32 v24, 0xbbc4, v24
	v_fmac_f16_e32 v63, 0xb5ac, v4
	v_add_f16_e32 v15, v2, v8
	v_mov_b32_e32 v2, v7
	v_mad_co_u64_u32 v[8:9], null, s8, v12, 0
	s_delay_alu instid0(VALU_DEP_4)
	v_add_f16_e32 v55, v55, v63
	v_fmamk_f16 v63, v3, 0x33a8, v24
	v_add_f16_e32 v10, v10, v30
	v_fmac_f16_e32 v24, 0xb3a8, v3
	v_add_f16_e32 v32, v36, v32
	v_fmamk_f16 v36, v3, 0x394e, v74
	v_fmac_f16_e32 v66, 0x3a95, v3
	v_fmac_f16_e32 v74, 0xb94e, v3
	;; [unrolled: 1-line block ×3, first 2 shown]
	v_mad_co_u64_u32 v[2:3], null, s9, v14, v[2:3]
	v_mov_b32_e32 v3, v9
	v_fma_f16 v11, v4, 0x3b15, -v53
	v_fma_f16 v5, v5, 0xb9fd, -v33
	v_add_f16_e32 v24, v10, v24
	v_add_nc_u32_e32 v10, 0x7e, v14
	v_add_f16_e32 v65, v65, v70
	v_mov_b32_e32 v7, v2
	v_mad_co_u64_u32 v[2:3], null, s9, v12, v[3:4]
	v_fmamk_f16 v70, v4, 0xb9fd, v62
	v_add_f16_e32 v41, v41, v54
	v_fmamk_f16 v54, v4, 0x3b15, v53
	v_add_f16_e32 v30, v13, v11
	v_add_f16_e32 v13, v15, v5
	v_fma_f16 v15, v4, 0xbbc4, -v29
	v_mad_co_u64_u32 v[3:4], null, s8, v10, 0
	v_add_nc_u32_e32 v11, 0xbd, v14
	v_add_co_u32 v29, vcc_lo, s10, v0
	s_wait_alu 0xfffd
	v_add_co_ci_u32_e32 v33, vcc_lo, s11, v1, vcc_lo
	v_lshlrev_b64_e32 v[0:1], 2, v[6:7]
	v_dual_mov_b32 v9, v2 :: v_dual_mov_b32 v2, v4
	v_mad_co_u64_u32 v[5:6], null, s8, v11, 0
	v_add_f16_e32 v21, v56, v63
	s_delay_alu instid0(VALU_DEP_3) | instskip(NEXT) | instid1(VALU_DEP_4)
	v_lshlrev_b64_e32 v[7:8], 2, v[8:9]
	v_mad_co_u64_u32 v[9:10], null, s9, v10, v[2:3]
	v_add_co_u32 v0, vcc_lo, v29, v0
	v_mov_b32_e32 v2, v6
	s_wait_alu 0xfffd
	v_add_co_ci_u32_e32 v1, vcc_lo, v33, v1, vcc_lo
	v_add_co_u32 v6, vcc_lo, v29, v7
	s_delay_alu instid0(VALU_DEP_3)
	v_mad_co_u64_u32 v[10:11], null, s9, v11, v[2:3]
	v_pack_b32_f16 v12, v17, v18
	s_wait_alu 0xfffd
	v_add_co_ci_u32_e32 v7, vcc_lo, v33, v8, vcc_lo
	v_pack_b32_f16 v8, v22, v21
	v_dual_mov_b32 v4, v9 :: v_dual_add_nc_u32 v11, 0xfc, v14
	v_add_f16_e32 v15, v13, v15
	s_clause 0x1
	global_store_b32 v[0:1], v12, off
	global_store_b32 v[6:7], v8, off
	v_dual_mov_b32 v6, v10 :: v_dual_add_nc_u32 v13, 0x13b, v14
	v_lshlrev_b64_e32 v[0:1], 2, v[3:4]
	v_mad_co_u64_u32 v[2:3], null, s8, v11, 0
	s_delay_alu instid0(VALU_DEP_3) | instskip(NEXT) | instid1(VALU_DEP_4)
	v_mad_co_u64_u32 v[7:8], null, s8, v13, 0
	v_lshlrev_b64_e32 v[4:5], 2, v[5:6]
	v_add_f16_e32 v38, v57, v54
	v_add_f16_e32 v36, v59, v36
	;; [unrolled: 1-line block ×3, first 2 shown]
	v_add_co_u32 v0, vcc_lo, v29, v0
	v_mad_co_u64_u32 v[11:12], null, s9, v11, v[3:4]
	v_add_nc_u32_e32 v18, 0x17a, v14
	v_mov_b32_e32 v6, v8
	s_wait_alu 0xfffd
	v_add_co_ci_u32_e32 v1, vcc_lo, v33, v1, vcc_lo
	v_pack_b32_f16 v17, v38, v25
	v_add_co_u32 v4, vcc_lo, v29, v4
	v_mov_b32_e32 v3, v11
	v_mad_co_u64_u32 v[9:10], null, s8, v18, 0
	v_mad_co_u64_u32 v[12:13], null, s9, v13, v[6:7]
	s_wait_alu 0xfffd
	v_add_co_ci_u32_e32 v5, vcc_lo, v33, v5, vcc_lo
	v_pack_b32_f16 v13, v23, v36
	global_store_b32 v[0:1], v17, off
	v_mov_b32_e32 v6, v10
	v_lshlrev_b64_e32 v[0:1], 2, v[2:3]
	v_dual_mov_b32 v8, v12 :: v_dual_add_nc_u32 v17, 0x2b5, v14
	global_store_b32 v[4:5], v13, off
	v_mad_co_u64_u32 v[10:11], null, s9, v18, v[6:7]
	v_add_nc_u32_e32 v11, 0x1b9, v14
	v_lshlrev_b64_e32 v[2:3], 2, v[7:8]
	v_add_co_u32 v0, vcc_lo, v29, v0
	s_wait_alu 0xfffd
	v_add_co_ci_u32_e32 v1, vcc_lo, v33, v1, vcc_lo
	v_mad_co_u64_u32 v[4:5], null, s8, v11, 0
	v_lshlrev_b64_e32 v[6:7], 2, v[9:10]
	v_pack_b32_f16 v12, v37, v27
	v_add_co_u32 v2, vcc_lo, v29, v2
	s_wait_alu 0xfffd
	v_add_co_ci_u32_e32 v3, vcc_lo, v33, v3, vcc_lo
	s_delay_alu instid0(VALU_DEP_4)
	v_mad_co_u64_u32 v[8:9], null, s9, v11, v[5:6]
	v_add_co_u32 v6, vcc_lo, v29, v6
	v_pack_b32_f16 v9, v55, v41
	s_wait_alu 0xfffd
	v_add_co_ci_u32_e32 v7, vcc_lo, v33, v7, vcc_lo
	v_pack_b32_f16 v10, v61, v65
	global_store_b32 v[0:1], v12, off
	v_dual_mov_b32 v5, v8 :: v_dual_add_nc_u32 v12, 0x276, v14
	s_clause 0x1
	global_store_b32 v[2:3], v9, off
	global_store_b32 v[6:7], v10, off
	v_add_nc_u32_e32 v10, 0x237, v14
	v_mad_co_u64_u32 v[6:7], null, s8, v12, 0
	v_add_nc_u32_e32 v8, 0x1f8, v14
	v_lshlrev_b64_e32 v[0:1], 2, v[4:5]
	s_delay_alu instid0(VALU_DEP_4) | instskip(SKIP_1) | instid1(VALU_DEP_4)
	v_mad_co_u64_u32 v[4:5], null, s8, v10, 0
	v_pack_b32_f16 v13, v32, v31
	v_mad_co_u64_u32 v[2:3], null, s8, v8, 0
	s_delay_alu instid0(VALU_DEP_4)
	v_add_co_u32 v0, vcc_lo, v29, v0
	s_wait_alu 0xfffd
	v_add_co_ci_u32_e32 v1, vcc_lo, v33, v1, vcc_lo
	v_add_f16_e32 v48, v48, v83
	v_add_f16_e32 v26, v64, v66
	v_mad_co_u64_u32 v[8:9], null, s9, v8, v[3:4]
	global_store_b32 v[0:1], v13, off
	v_add_f16_e32 v48, v48, v75
	v_add_f16_e32 v42, v42, v74
	v_mov_b32_e32 v3, v8
	v_mad_co_u64_u32 v[9:10], null, s9, v10, v[5:6]
	v_mov_b32_e32 v5, v7
	v_mad_co_u64_u32 v[10:11], null, s8, v17, 0
	s_delay_alu instid0(VALU_DEP_4) | instskip(SKIP_1) | instid1(VALU_DEP_4)
	v_lshlrev_b64_e32 v[0:1], 2, v[2:3]
	v_add_f16_e32 v48, v48, v50
	v_mad_co_u64_u32 v[7:8], null, s9, v12, v[5:6]
	v_dual_mov_b32 v5, v9 :: v_dual_add_nc_u32 v12, 0x2f4, v14
	v_mov_b32_e32 v2, v11
	v_add_co_u32 v0, vcc_lo, v29, v0
	s_delay_alu instid0(VALU_DEP_3) | instskip(NEXT) | instid1(VALU_DEP_3)
	v_mad_co_u64_u32 v[8:9], null, s8, v12, 0
	v_mad_co_u64_u32 v[2:3], null, s9, v17, v[2:3]
	v_lshlrev_b64_e32 v[4:5], 2, v[4:5]
	s_wait_alu 0xfffd
	v_add_co_ci_u32_e32 v1, vcc_lo, v33, v1, vcc_lo
	v_lshlrev_b64_e32 v[6:7], 2, v[6:7]
	v_mov_b32_e32 v3, v9
	v_add_f16_e32 v39, v48, v40
	v_mov_b32_e32 v11, v2
	v_add_co_u32 v2, vcc_lo, v29, v4
	s_delay_alu instid0(VALU_DEP_4)
	v_mad_co_u64_u32 v[12:13], null, s9, v12, v[3:4]
	s_wait_alu 0xfffd
	v_add_co_ci_u32_e32 v3, vcc_lo, v33, v5, vcc_lo
	v_lshlrev_b64_e32 v[4:5], 2, v[10:11]
	v_add_co_u32 v6, vcc_lo, v29, v6
	v_add_f16_e32 v16, v39, v90
	v_mov_b32_e32 v9, v12
	s_wait_alu 0xfffd
	v_add_co_ci_u32_e32 v7, vcc_lo, v33, v7, vcc_lo
	v_add_co_u32 v4, vcc_lo, v29, v4
	s_delay_alu instid0(VALU_DEP_3)
	v_lshlrev_b64_e32 v[8:9], 2, v[8:9]
	v_pack_b32_f16 v14, v35, v28
	v_pack_b32_f16 v13, v19, v26
	s_wait_alu 0xfffd
	v_add_co_ci_u32_e32 v5, vcc_lo, v33, v5, vcc_lo
	v_pack_b32_f16 v10, v20, v42
	v_add_co_u32 v8, vcc_lo, v29, v8
	v_pack_b32_f16 v11, v30, v16
	s_wait_alu 0xfffd
	v_add_co_ci_u32_e32 v9, vcc_lo, v33, v9, vcc_lo
	v_pack_b32_f16 v12, v15, v24
	s_clause 0x4
	global_store_b32 v[0:1], v14, off
	global_store_b32 v[2:3], v13, off
	;; [unrolled: 1-line block ×5, first 2 shown]
	s_nop 0
	s_sendmsg sendmsg(MSG_DEALLOC_VGPRS)
	s_endpgm
	.section	.rodata,"a",@progbits
	.p2align	6, 0x0
	.amdhsa_kernel fft_rtc_back_len819_factors_9_7_13_wgs_117_tpt_117_half_ip_CI_sbrr_dirReg
		.amdhsa_group_segment_fixed_size 0
		.amdhsa_private_segment_fixed_size 0
		.amdhsa_kernarg_size 88
		.amdhsa_user_sgpr_count 2
		.amdhsa_user_sgpr_dispatch_ptr 0
		.amdhsa_user_sgpr_queue_ptr 0
		.amdhsa_user_sgpr_kernarg_segment_ptr 1
		.amdhsa_user_sgpr_dispatch_id 0
		.amdhsa_user_sgpr_private_segment_size 0
		.amdhsa_wavefront_size32 1
		.amdhsa_uses_dynamic_stack 0
		.amdhsa_enable_private_segment 0
		.amdhsa_system_sgpr_workgroup_id_x 1
		.amdhsa_system_sgpr_workgroup_id_y 0
		.amdhsa_system_sgpr_workgroup_id_z 0
		.amdhsa_system_sgpr_workgroup_info 0
		.amdhsa_system_vgpr_workitem_id 0
		.amdhsa_next_free_vgpr 91
		.amdhsa_next_free_sgpr 35
		.amdhsa_reserve_vcc 1
		.amdhsa_float_round_mode_32 0
		.amdhsa_float_round_mode_16_64 0
		.amdhsa_float_denorm_mode_32 3
		.amdhsa_float_denorm_mode_16_64 3
		.amdhsa_fp16_overflow 0
		.amdhsa_workgroup_processor_mode 1
		.amdhsa_memory_ordered 1
		.amdhsa_forward_progress 0
		.amdhsa_round_robin_scheduling 0
		.amdhsa_exception_fp_ieee_invalid_op 0
		.amdhsa_exception_fp_denorm_src 0
		.amdhsa_exception_fp_ieee_div_zero 0
		.amdhsa_exception_fp_ieee_overflow 0
		.amdhsa_exception_fp_ieee_underflow 0
		.amdhsa_exception_fp_ieee_inexact 0
		.amdhsa_exception_int_div_zero 0
	.end_amdhsa_kernel
	.text
.Lfunc_end0:
	.size	fft_rtc_back_len819_factors_9_7_13_wgs_117_tpt_117_half_ip_CI_sbrr_dirReg, .Lfunc_end0-fft_rtc_back_len819_factors_9_7_13_wgs_117_tpt_117_half_ip_CI_sbrr_dirReg
                                        ; -- End function
	.section	.AMDGPU.csdata,"",@progbits
; Kernel info:
; codeLenInByte = 8052
; NumSgprs: 37
; NumVgprs: 91
; ScratchSize: 0
; MemoryBound: 0
; FloatMode: 240
; IeeeMode: 1
; LDSByteSize: 0 bytes/workgroup (compile time only)
; SGPRBlocks: 4
; VGPRBlocks: 11
; NumSGPRsForWavesPerEU: 37
; NumVGPRsForWavesPerEU: 91
; Occupancy: 16
; WaveLimiterHint : 1
; COMPUTE_PGM_RSRC2:SCRATCH_EN: 0
; COMPUTE_PGM_RSRC2:USER_SGPR: 2
; COMPUTE_PGM_RSRC2:TRAP_HANDLER: 0
; COMPUTE_PGM_RSRC2:TGID_X_EN: 1
; COMPUTE_PGM_RSRC2:TGID_Y_EN: 0
; COMPUTE_PGM_RSRC2:TGID_Z_EN: 0
; COMPUTE_PGM_RSRC2:TIDIG_COMP_CNT: 0
	.text
	.p2alignl 7, 3214868480
	.fill 96, 4, 3214868480
	.type	__hip_cuid_681a02243a2409da,@object ; @__hip_cuid_681a02243a2409da
	.section	.bss,"aw",@nobits
	.globl	__hip_cuid_681a02243a2409da
__hip_cuid_681a02243a2409da:
	.byte	0                               ; 0x0
	.size	__hip_cuid_681a02243a2409da, 1

	.ident	"AMD clang version 19.0.0git (https://github.com/RadeonOpenCompute/llvm-project roc-6.4.0 25133 c7fe45cf4b819c5991fe208aaa96edf142730f1d)"
	.section	".note.GNU-stack","",@progbits
	.addrsig
	.addrsig_sym __hip_cuid_681a02243a2409da
	.amdgpu_metadata
---
amdhsa.kernels:
  - .args:
      - .actual_access:  read_only
        .address_space:  global
        .offset:         0
        .size:           8
        .value_kind:     global_buffer
      - .offset:         8
        .size:           8
        .value_kind:     by_value
      - .actual_access:  read_only
        .address_space:  global
        .offset:         16
        .size:           8
        .value_kind:     global_buffer
      - .actual_access:  read_only
        .address_space:  global
        .offset:         24
        .size:           8
        .value_kind:     global_buffer
      - .offset:         32
        .size:           8
        .value_kind:     by_value
      - .actual_access:  read_only
        .address_space:  global
        .offset:         40
        .size:           8
        .value_kind:     global_buffer
      - .actual_access:  read_only
        .address_space:  global
        .offset:         48
        .size:           8
        .value_kind:     global_buffer
      - .offset:         56
        .size:           4
        .value_kind:     by_value
      - .actual_access:  read_only
        .address_space:  global
        .offset:         64
        .size:           8
        .value_kind:     global_buffer
      - .actual_access:  read_only
        .address_space:  global
        .offset:         72
        .size:           8
        .value_kind:     global_buffer
      - .address_space:  global
        .offset:         80
        .size:           8
        .value_kind:     global_buffer
    .group_segment_fixed_size: 0
    .kernarg_segment_align: 8
    .kernarg_segment_size: 88
    .language:       OpenCL C
    .language_version:
      - 2
      - 0
    .max_flat_workgroup_size: 117
    .name:           fft_rtc_back_len819_factors_9_7_13_wgs_117_tpt_117_half_ip_CI_sbrr_dirReg
    .private_segment_fixed_size: 0
    .sgpr_count:     37
    .sgpr_spill_count: 0
    .symbol:         fft_rtc_back_len819_factors_9_7_13_wgs_117_tpt_117_half_ip_CI_sbrr_dirReg.kd
    .uniform_work_group_size: 1
    .uses_dynamic_stack: false
    .vgpr_count:     91
    .vgpr_spill_count: 0
    .wavefront_size: 32
    .workgroup_processor_mode: 1
amdhsa.target:   amdgcn-amd-amdhsa--gfx1201
amdhsa.version:
  - 1
  - 2
...

	.end_amdgpu_metadata
